;; amdgpu-corpus repo=ROCm/rocFFT kind=compiled arch=gfx1201 opt=O3
	.text
	.amdgcn_target "amdgcn-amd-amdhsa--gfx1201"
	.amdhsa_code_object_version 6
	.protected	bluestein_single_fwd_len90_dim1_dp_op_CI_CI ; -- Begin function bluestein_single_fwd_len90_dim1_dp_op_CI_CI
	.globl	bluestein_single_fwd_len90_dim1_dp_op_CI_CI
	.p2align	8
	.type	bluestein_single_fwd_len90_dim1_dp_op_CI_CI,@function
bluestein_single_fwd_len90_dim1_dp_op_CI_CI: ; @bluestein_single_fwd_len90_dim1_dp_op_CI_CI
; %bb.0:
	s_load_b128 s[12:15], s[0:1], 0x28
	v_mul_u32_u24_e32 v1, 0x1c72, v0
	s_mov_b32 s2, exec_lo
	s_delay_alu instid0(VALU_DEP_1) | instskip(NEXT) | instid1(VALU_DEP_1)
	v_lshrrev_b32_e32 v1, 16, v1
	v_mad_co_u64_u32 v[152:153], null, ttmp9, 7, v[1:2]
	v_mov_b32_e32 v153, 0
                                        ; kill: def $vgpr2 killed $sgpr0 killed $exec
	s_wait_kmcnt 0x0
	s_delay_alu instid0(VALU_DEP_1)
	v_cmpx_gt_u64_e64 s[12:13], v[152:153]
	s_cbranch_execz .LBB0_23
; %bb.1:
	s_load_b128 s[4:7], s[0:1], 0x18
	v_mul_lo_u16 v1, v1, 9
	v_mul_hi_u32 v112, 0x24924925, v152
	s_movk_i32 s2, 0xffcd
	s_mov_b32 s3, -1
	s_delay_alu instid0(VALU_DEP_2) | instskip(NEXT) | instid1(VALU_DEP_2)
	v_sub_nc_u16 v110, v0, v1
	v_sub_nc_u32_e32 v113, v152, v112
	s_delay_alu instid0(VALU_DEP_2) | instskip(NEXT) | instid1(VALU_DEP_2)
	v_and_b32_e32 v155, 0xffff, v110
	v_lshrrev_b32_e32 v113, 1, v113
	s_wait_kmcnt 0x0
	s_load_b128 s[8:11], s[4:5], 0x0
	s_delay_alu instid0(VALU_DEP_1) | instskip(NEXT) | instid1(VALU_DEP_1)
	v_add_nc_u32_e32 v112, v113, v112
	v_lshrrev_b32_e32 v112, 2, v112
	s_delay_alu instid0(VALU_DEP_1)
	v_mul_lo_u32 v112, v112, 7
	s_wait_kmcnt 0x0
	v_mad_co_u64_u32 v[0:1], null, s10, v152, 0
	v_mad_co_u64_u32 v[2:3], null, s8, v155, 0
	s_mul_u64 s[4:5], s[8:9], 30
	s_mul_u64 s[2:3], s[8:9], s[2:3]
	s_lshl_b64 s[12:13], s[4:5], 4
	s_lshl_b64 s[2:3], s[2:3], 4
	s_delay_alu instid0(VALU_DEP_1) | instskip(SKIP_1) | instid1(VALU_DEP_1)
	v_mad_co_u64_u32 v[4:5], null, s11, v152, v[1:2]
	s_load_b64 s[10:11], s[0:1], 0x0
	v_mad_co_u64_u32 v[5:6], null, s9, v155, v[3:4]
	v_mov_b32_e32 v1, v4
	s_delay_alu instid0(VALU_DEP_1) | instskip(NEXT) | instid1(VALU_DEP_3)
	v_lshlrev_b64_e32 v[0:1], 4, v[0:1]
	v_mov_b32_e32 v3, v5
	s_delay_alu instid0(VALU_DEP_2) | instskip(NEXT) | instid1(VALU_DEP_2)
	v_add_co_u32 v12, vcc_lo, s14, v0
	v_lshlrev_b64_e32 v[2:3], 4, v[2:3]
	s_delay_alu instid0(VALU_DEP_4) | instskip(NEXT) | instid1(VALU_DEP_2)
	v_add_co_ci_u32_e32 v13, vcc_lo, s15, v1, vcc_lo
	v_add_co_u32 v16, vcc_lo, v12, v2
	s_wait_alu 0xfffd
	s_delay_alu instid0(VALU_DEP_2) | instskip(NEXT) | instid1(VALU_DEP_2)
	v_add_co_ci_u32_e32 v17, vcc_lo, v13, v3, vcc_lo
	v_add_co_u32 v18, vcc_lo, v16, s12
	s_wait_alu 0xfffd
	s_delay_alu instid0(VALU_DEP_2) | instskip(NEXT) | instid1(VALU_DEP_2)
	;; [unrolled: 4-line block ×6, first 2 shown]
	v_add_co_ci_u32_e32 v29, vcc_lo, s13, v27, vcc_lo
	v_add_co_u32 v66, vcc_lo, v28, s2
	s_wait_alu 0xfffd
	s_delay_alu instid0(VALU_DEP_2) | instskip(NEXT) | instid1(VALU_DEP_1)
	v_add_co_ci_u32_e32 v67, vcc_lo, s3, v29, vcc_lo
	v_mad_co_u64_u32 v[36:37], null, 0x3c0, s8, v[66:67]
	s_delay_alu instid0(VALU_DEP_1)
	v_mov_b32_e32 v30, v37
	v_or_b32_e32 v156, 48, v155
	v_lshlrev_b32_e32 v111, 4, v155
	s_wait_kmcnt 0x0
	s_clause 0x1
	global_load_b128 v[8:11], v111, s[10:11]
	global_load_b128 v[4:7], v111, s[10:11] offset:480
	v_mad_co_u64_u32 v[0:1], null, s8, v156, 0
	v_mad_co_u64_u32 v[32:33], null, 0x3c0, s9, v[30:31]
	v_add_co_u32 v153, s14, s10, v111
	s_wait_alu 0xf1ff
	v_add_co_ci_u32_e64 v154, null, s11, 0, s14
	s_delay_alu instid0(VALU_DEP_4) | instskip(NEXT) | instid1(VALU_DEP_4)
	v_mad_co_u64_u32 v[1:2], null, s9, v156, v[1:2]
	v_mov_b32_e32 v37, v32
	s_delay_alu instid0(VALU_DEP_2) | instskip(NEXT) | instid1(VALU_DEP_1)
	v_lshlrev_b64_e32 v[0:1], 4, v[0:1]
	v_add_co_u32 v22, vcc_lo, v12, v0
	s_wait_alu 0xfffd
	s_delay_alu instid0(VALU_DEP_2)
	v_add_co_ci_u32_e32 v23, vcc_lo, v13, v1, vcc_lo
	s_clause 0x1
	global_load_b128 v[12:15], v111, s[10:11] offset:960
	global_load_b128 v[0:3], v111, s[10:11] offset:768
	s_clause 0x3
	global_load_b128 v[38:41], v[16:17], off
	global_load_b128 v[42:45], v[22:23], off
	;; [unrolled: 1-line block ×4, first 2 shown]
	global_load_b128 v[20:23], v111, s[10:11] offset:144
	global_load_b128 v[54:57], v[24:25], off
	global_load_b128 v[16:19], v111, s[10:11] offset:1104
	global_load_b128 v[58:61], v[28:29], off
	;; [unrolled: 2-line block ×5, first 2 shown]
	s_load_b64 s[8:9], s[0:1], 0x38
	s_load_b128 s[4:7], s[6:7], 0x0
	v_cmp_gt_u16_e32 vcc_lo, 3, v110
	s_wait_loadcnt 0xb
	v_mul_f64_e32 v[82:83], v[48:49], v[6:7]
	v_mul_f64_e32 v[96:97], v[46:47], v[6:7]
	s_wait_loadcnt 0x8
	v_mul_f64_e32 v[88:89], v[56:57], v[22:23]
	v_mul_f64_e32 v[74:75], v[40:41], v[10:11]
	v_mul_f64_e32 v[76:77], v[38:39], v[10:11]
	v_mul_f64_e32 v[90:91], v[54:55], v[22:23]
	s_wait_loadcnt 0x2
	v_mul_f64_e32 v[102:103], v[68:69], v[34:35]
	v_mul_f64_e32 v[104:105], v[66:67], v[34:35]
	;; [unrolled: 1-line block ×10, first 2 shown]
	s_wait_loadcnt 0x0
	v_mul_f64_e32 v[106:107], v[72:73], v[26:27]
	v_mul_f64_e32 v[108:109], v[70:71], v[26:27]
	v_fma_f64 v[46:47], v[46:47], v[4:5], v[82:83]
	v_fma_f64 v[48:49], v[48:49], v[4:5], -v[96:97]
	v_fma_f64 v[54:55], v[54:55], v[20:21], v[88:89]
	v_fma_f64 v[38:39], v[38:39], v[8:9], v[74:75]
	v_fma_f64 v[40:41], v[40:41], v[8:9], -v[76:77]
	v_fma_f64 v[56:57], v[56:57], v[20:21], -v[90:91]
	v_fma_f64 v[66:67], v[66:67], v[32:33], v[102:103]
	v_fma_f64 v[68:69], v[68:69], v[32:33], -v[104:105]
	v_fma_f64 v[50:51], v[50:51], v[12:13], v[84:85]
	v_fma_f64 v[52:53], v[52:53], v[12:13], -v[86:87]
	v_fma_f64 v[62:63], v[62:63], v[28:29], v[98:99]
	v_fma_f64 v[64:65], v[64:65], v[28:29], -v[100:101]
	v_fma_f64 v[42:43], v[42:43], v[0:1], v[78:79]
	v_fma_f64 v[44:45], v[44:45], v[0:1], -v[80:81]
	v_fma_f64 v[58:59], v[58:59], v[16:17], v[92:93]
	v_fma_f64 v[60:61], v[60:61], v[16:17], -v[94:95]
	v_fma_f64 v[70:71], v[70:71], v[24:25], v[106:107]
	v_fma_f64 v[72:73], v[72:73], v[24:25], -v[108:109]
	v_sub_nc_u32_e32 v74, v152, v112
	s_delay_alu instid0(VALU_DEP_1) | instskip(NEXT) | instid1(VALU_DEP_1)
	v_mul_u32_u24_e32 v74, 0x5a, v74
	v_lshlrev_b32_e32 v158, 4, v74
	s_delay_alu instid0(VALU_DEP_1)
	v_add_nc_u32_e32 v157, v111, v158
	ds_store_b128 v157, v[38:41]
	ds_store_b128 v157, v[54:57] offset:144
	ds_store_b128 v157, v[50:53] offset:960
	;; [unrolled: 1-line block ×8, first 2 shown]
	s_and_saveexec_b32 s14, vcc_lo
	s_cbranch_execz .LBB0_3
; %bb.2:
	v_add_co_u32 v36, s2, v36, s2
	s_wait_alu 0xf1ff
	v_add_co_ci_u32_e64 v37, s2, s3, v37, s2
	s_delay_alu instid0(VALU_DEP_2) | instskip(SKIP_1) | instid1(VALU_DEP_2)
	v_add_co_u32 v44, s2, v36, s12
	s_wait_alu 0xf1ff
	v_add_co_ci_u32_e64 v45, s2, s13, v37, s2
	global_load_b128 v[36:39], v[36:37], off
	v_add_co_u32 v56, s2, v44, s12
	s_wait_alu 0xf1ff
	v_add_co_ci_u32_e64 v57, s2, s13, v45, s2
	global_load_b128 v[40:43], v[153:154], off offset:432
	global_load_b128 v[44:47], v[44:45], off
	s_clause 0x1
	global_load_b128 v[48:51], v[153:154], off offset:912
	global_load_b128 v[52:55], v[153:154], off offset:1392
	global_load_b128 v[56:59], v[56:57], off
	s_wait_loadcnt 0x4
	v_mul_f64_e32 v[60:61], v[38:39], v[42:43]
	v_mul_f64_e32 v[42:43], v[36:37], v[42:43]
	s_wait_loadcnt 0x2
	v_mul_f64_e32 v[62:63], v[46:47], v[50:51]
	v_mul_f64_e32 v[50:51], v[44:45], v[50:51]
	;; [unrolled: 3-line block ×3, first 2 shown]
	v_fma_f64 v[36:37], v[36:37], v[40:41], v[60:61]
	v_fma_f64 v[38:39], v[38:39], v[40:41], -v[42:43]
	v_fma_f64 v[40:41], v[44:45], v[48:49], v[62:63]
	v_fma_f64 v[42:43], v[46:47], v[48:49], -v[50:51]
	;; [unrolled: 2-line block ×3, first 2 shown]
	ds_store_b128 v157, v[36:39] offset:432
	ds_store_b128 v157, v[40:43] offset:912
	;; [unrolled: 1-line block ×3, first 2 shown]
.LBB0_3:
	s_wait_alu 0xfffe
	s_or_b32 exec_lo, exec_lo, s14
	global_wb scope:SCOPE_SE
	s_wait_dscnt 0x0
	s_wait_kmcnt 0x0
	s_barrier_signal -1
	s_barrier_wait -1
	global_inv scope:SCOPE_SE
	ds_load_b128 v[52:55], v157
	ds_load_b128 v[48:51], v157 offset:144
	ds_load_b128 v[36:39], v157 offset:960
	;; [unrolled: 1-line block ×8, first 2 shown]
                                        ; implicit-def: $vgpr60_vgpr61
                                        ; implicit-def: $vgpr76_vgpr77
                                        ; implicit-def: $vgpr80_vgpr81
	s_and_saveexec_b32 s2, vcc_lo
	s_cbranch_execz .LBB0_5
; %bb.4:
	ds_load_b128 v[60:63], v157 offset:432
	ds_load_b128 v[76:79], v157 offset:912
	;; [unrolled: 1-line block ×3, first 2 shown]
.LBB0_5:
	s_wait_alu 0xfffe
	s_or_b32 exec_lo, exec_lo, s2
	s_wait_dscnt 0x4
	v_add_f64_e32 v[84:85], v[72:73], v[36:37]
	v_add_f64_e32 v[86:87], v[74:75], v[38:39]
	s_wait_dscnt 0x0
	v_add_f64_e32 v[92:93], v[64:65], v[44:45]
	v_add_f64_e32 v[94:95], v[66:67], v[46:47]
	;; [unrolled: 1-line block ×7, first 2 shown]
	v_add_f64_e64 v[102:103], v[74:75], -v[38:39]
	v_add_f64_e32 v[74:75], v[54:55], v[74:75]
	v_add_f64_e32 v[108:109], v[56:57], v[64:65]
	;; [unrolled: 1-line block ×5, first 2 shown]
	v_add_f64_e64 v[72:73], v[72:73], -v[36:37]
	v_add_f64_e64 v[120:121], v[66:67], -v[46:47]
	v_add_f64_e32 v[104:105], v[48:49], v[68:69]
	v_add_f64_e32 v[106:107], v[50:51], v[70:71]
	v_add_f64_e64 v[116:117], v[70:71], -v[42:43]
	v_add_f64_e64 v[118:119], v[68:69], -v[40:41]
	s_mov_b32 s2, 0xe8584caa
	s_mov_b32 s3, 0x3febb67a
	;; [unrolled: 1-line block ×3, first 2 shown]
	s_wait_alu 0xfffe
	s_mov_b32 s12, s2
	s_load_b64 s[0:1], s[0:1], 0x8
	global_wb scope:SCOPE_SE
	s_wait_kmcnt 0x0
	s_barrier_signal -1
	s_barrier_wait -1
	global_inv scope:SCOPE_SE
	v_fma_f64 v[84:85], v[84:85], -0.5, v[52:53]
	v_fma_f64 v[86:87], v[86:87], -0.5, v[54:55]
	v_fma_f64 v[56:57], v[92:93], -0.5, v[56:57]
	v_add_f64_e64 v[92:93], v[64:65], -v[44:45]
	v_fma_f64 v[58:59], v[94:95], -0.5, v[58:59]
	v_add_f64_e64 v[94:95], v[78:79], -v[82:83]
	v_fma_f64 v[60:61], v[96:97], -0.5, v[60:61]
	v_add_f64_e64 v[96:97], v[76:77], -v[80:81]
	v_fma_f64 v[62:63], v[98:99], -0.5, v[62:63]
	v_fma_f64 v[88:89], v[88:89], -0.5, v[48:49]
	v_fma_f64 v[90:91], v[90:91], -0.5, v[50:51]
	v_add_f64_e32 v[48:49], v[100:101], v[36:37]
	v_add_f64_e32 v[50:51], v[74:75], v[38:39]
	;; [unrolled: 1-line block ×8, first 2 shown]
	v_mul_lo_u16 v43, v155, 3
	s_delay_alu instid0(VALU_DEP_1) | instskip(NEXT) | instid1(VALU_DEP_1)
	v_and_b32_e32 v43, 0xffff, v43
	v_lshl_add_u32 v161, v43, 4, v158
	v_fma_f64 v[64:65], v[102:103], s[2:3], v[84:85]
	v_fma_f64 v[68:69], v[102:103], s[12:13], v[84:85]
	v_fma_f64 v[66:67], v[72:73], s[12:13], v[86:87]
	v_fma_f64 v[70:71], v[72:73], s[2:3], v[86:87]
	v_fma_f64 v[80:81], v[120:121], s[2:3], v[56:57]
	v_fma_f64 v[84:85], v[120:121], s[12:13], v[56:57]
	v_fma_f64 v[82:83], v[92:93], s[12:13], v[58:59]
	v_fma_f64 v[86:87], v[92:93], s[2:3], v[58:59]
	v_fma_f64 v[56:57], v[94:95], s[2:3], v[60:61]
	v_fma_f64 v[60:61], v[94:95], s[12:13], v[60:61]
	v_fma_f64 v[58:59], v[96:97], s[12:13], v[62:63]
	v_fma_f64 v[62:63], v[96:97], s[2:3], v[62:63]
	v_fma_f64 v[72:73], v[116:117], s[2:3], v[88:89]
	v_fma_f64 v[74:75], v[118:119], s[12:13], v[90:91]
	v_fma_f64 v[76:77], v[116:117], s[12:13], v[88:89]
	v_fma_f64 v[78:79], v[118:119], s[2:3], v[90:91]
	v_add_co_u32 v36, s2, v155, 9
	s_wait_alu 0xf1ff
	v_add_co_ci_u32_e64 v37, null, 0, 0, s2
	v_add_co_u32 v38, s2, v155, 18
	s_wait_alu 0xf1ff
	v_add_co_ci_u32_e64 v37, null, 0, 0, s2
	v_add_co_u32 v37, null, v155, 27
	v_mul_u32_u24_e32 v88, 3, v36
	v_mul_u32_u24_e32 v89, 3, v38
	s_delay_alu instid0(VALU_DEP_3) | instskip(NEXT) | instid1(VALU_DEP_3)
	v_mul_u32_u24_e32 v159, 3, v37
	v_lshl_add_u32 v162, v88, 4, v158
	s_delay_alu instid0(VALU_DEP_3)
	v_lshl_add_u32 v160, v89, 4, v158
	ds_store_b128 v161, v[48:51]
	ds_store_b128 v161, v[64:67] offset:16
	ds_store_b128 v161, v[68:71] offset:32
	ds_store_b128 v162, v[39:42]
	ds_store_b128 v162, v[72:75] offset:16
	ds_store_b128 v162, v[76:79] offset:32
	;; [unrolled: 3-line block ×3, first 2 shown]
	s_and_saveexec_b32 s2, vcc_lo
	s_cbranch_execz .LBB0_7
; %bb.6:
	v_lshl_add_u32 v39, v159, 4, v158
	ds_store_b128 v39, v[44:47]
	ds_store_b128 v39, v[56:59] offset:16
	ds_store_b128 v39, v[60:63] offset:32
.LBB0_7:
	s_wait_alu 0xfffe
	s_or_b32 exec_lo, exec_lo, s2
	global_wb scope:SCOPE_SE
	s_wait_dscnt 0x0
	s_barrier_signal -1
	s_barrier_wait -1
	global_inv scope:SCOPE_SE
	ds_load_b128 v[52:55], v157
	ds_load_b128 v[48:51], v157 offset:144
	ds_load_b128 v[96:99], v157 offset:960
	;; [unrolled: 1-line block ×8, first 2 shown]
	s_and_saveexec_b32 s2, vcc_lo
	s_cbranch_execz .LBB0_9
; %bb.8:
	ds_load_b128 v[44:47], v157 offset:432
	ds_load_b128 v[56:59], v157 offset:912
	;; [unrolled: 1-line block ×3, first 2 shown]
.LBB0_9:
	s_wait_alu 0xfffe
	s_or_b32 exec_lo, exec_lo, s2
	v_and_b32_e32 v39, 0xff, v155
	v_and_b32_e32 v40, 0xff, v38
	;; [unrolled: 1-line block ×4, first 2 shown]
	s_mov_b32 s2, 0xe8584caa
	v_mul_lo_u16 v39, 0xab, v39
	v_mul_lo_u16 v40, 0xab, v40
	;; [unrolled: 1-line block ×3, first 2 shown]
	s_mov_b32 s3, 0x3febb67a
	s_wait_alu 0xfffe
	s_mov_b32 s12, s2
	v_lshrrev_b16 v150, 9, v39
	v_lshrrev_b16 v151, 9, v40
	v_mul_lo_u16 v39, 0xab, v42
	v_lshrrev_b16 v163, 9, v41
	s_delay_alu instid0(VALU_DEP_4) | instskip(NEXT) | instid1(VALU_DEP_4)
	v_mul_lo_u16 v40, v150, 3
	v_mul_lo_u16 v41, v151, 3
	s_delay_alu instid0(VALU_DEP_4) | instskip(NEXT) | instid1(VALU_DEP_4)
	v_lshrrev_b16 v39, 9, v39
	v_mul_lo_u16 v42, v163, 3
	s_delay_alu instid0(VALU_DEP_4) | instskip(NEXT) | instid1(VALU_DEP_4)
	v_sub_nc_u16 v164, v155, v40
	v_sub_nc_u16 v38, v38, v41
	s_delay_alu instid0(VALU_DEP_4) | instskip(NEXT) | instid1(VALU_DEP_4)
	v_mul_lo_u16 v39, v39, 3
	v_sub_nc_u16 v165, v36, v42
	s_delay_alu instid0(VALU_DEP_4) | instskip(NEXT) | instid1(VALU_DEP_4)
	v_lshlrev_b16 v36, 1, v164
	v_and_b32_e32 v166, 0xff, v38
	s_delay_alu instid0(VALU_DEP_4) | instskip(NEXT) | instid1(VALU_DEP_4)
	v_sub_nc_u16 v167, v37, v39
	v_lshlrev_b16 v37, 1, v165
	s_delay_alu instid0(VALU_DEP_4) | instskip(NEXT) | instid1(VALU_DEP_4)
	v_and_b32_e32 v36, 0xfe, v36
	v_lshlrev_b32_e32 v38, 5, v166
	s_delay_alu instid0(VALU_DEP_4) | instskip(NEXT) | instid1(VALU_DEP_4)
	v_lshlrev_b16 v39, 1, v167
	v_and_b32_e32 v37, 0xfe, v37
	s_clause 0x1
	global_load_b128 v[68:71], v38, s[0:1]
	global_load_b128 v[64:67], v38, s[0:1] offset:16
	v_lshlrev_b32_e32 v36, 4, v36
	v_and_b32_e32 v38, 0xfe, v39
	v_lshlrev_b32_e32 v37, 4, v37
	s_clause 0x1
	global_load_b128 v[84:87], v36, s[0:1]
	global_load_b128 v[80:83], v36, s[0:1] offset:16
	v_lshlrev_b32_e32 v36, 4, v38
	s_clause 0x3
	global_load_b128 v[76:79], v37, s[0:1]
	global_load_b128 v[72:75], v37, s[0:1] offset:16
	global_load_b128 v[40:43], v36, s[0:1]
	global_load_b128 v[36:39], v36, s[0:1] offset:16
	global_wb scope:SCOPE_SE
	s_wait_loadcnt_dscnt 0x0
	s_barrier_signal -1
	s_barrier_wait -1
	global_inv scope:SCOPE_SE
	v_mul_f64_e32 v[116:117], v[110:111], v[70:71]
	v_mul_f64_e32 v[120:121], v[108:109], v[70:71]
	;; [unrolled: 1-line block ×16, first 2 shown]
	v_fma_f64 v[108:109], v[108:109], v[68:69], -v[116:117]
	v_fma_f64 v[110:111], v[110:111], v[68:69], v[120:121]
	v_fma_f64 v[114:115], v[114:115], v[64:65], v[122:123]
	v_fma_f64 v[112:113], v[112:113], v[64:65], -v[118:119]
	v_fma_f64 v[104:105], v[104:105], v[84:85], -v[124:125]
	;; [unrolled: 1-line block ×3, first 2 shown]
	v_fma_f64 v[106:107], v[106:107], v[84:85], v[128:129]
	v_fma_f64 v[98:99], v[98:99], v[80:81], v[130:131]
	v_fma_f64 v[116:117], v[92:93], v[72:73], -v[134:135]
	v_fma_f64 v[92:93], v[56:57], v[40:41], -v[140:141]
	;; [unrolled: 1-line block ×3, first 2 shown]
	v_fma_f64 v[60:61], v[58:59], v[40:41], v[144:145]
	v_fma_f64 v[58:59], v[62:63], v[36:37], v[146:147]
	v_fma_f64 v[100:101], v[100:101], v[76:77], -v[132:133]
	v_fma_f64 v[102:103], v[102:103], v[76:77], v[136:137]
	v_fma_f64 v[94:95], v[94:95], v[72:73], v[138:139]
	v_add_f64_e32 v[132:133], v[88:89], v[108:109]
	v_add_f64_e32 v[118:119], v[110:111], v[114:115]
	;; [unrolled: 1-line block ×3, first 2 shown]
	v_add_f64_e64 v[134:135], v[110:111], -v[114:115]
	v_add_f64_e32 v[110:111], v[90:91], v[110:111]
	v_add_f64_e32 v[136:137], v[52:53], v[104:105]
	;; [unrolled: 1-line block ×5, first 2 shown]
	v_add_f64_e64 v[108:109], v[108:109], -v[112:113]
	v_add_f64_e64 v[106:107], v[106:107], -v[98:99]
	v_add_f64_e32 v[128:129], v[92:93], v[56:57]
	v_add_f64_e64 v[104:105], v[104:105], -v[96:97]
	v_add_f64_e32 v[130:131], v[60:61], v[58:59]
	v_add_f64_e32 v[124:125], v[100:101], v[116:117]
	v_add_f64_e32 v[140:141], v[48:49], v[100:101]
	v_add_f64_e32 v[126:127], v[102:103], v[94:95]
	v_add_f64_e64 v[146:147], v[60:61], -v[58:59]
	v_add_f64_e64 v[148:149], v[92:93], -v[56:57]
	v_add_f64_e32 v[142:143], v[50:51], v[102:103]
	v_add_f64_e64 v[102:103], v[102:103], -v[94:95]
	v_add_f64_e64 v[144:145], v[100:101], -v[116:117]
	v_fma_f64 v[118:119], v[118:119], -0.5, v[90:91]
	v_fma_f64 v[62:63], v[62:63], -0.5, v[88:89]
	;; [unrolled: 1-line block ×3, first 2 shown]
	v_add_f64_e32 v[52:53], v[136:137], v[96:97]
	v_fma_f64 v[122:123], v[122:123], -0.5, v[54:55]
	v_add_f64_e32 v[54:55], v[138:139], v[98:99]
	v_fma_f64 v[128:129], v[128:129], -0.5, v[44:45]
	v_fma_f64 v[130:131], v[130:131], -0.5, v[46:47]
	;; [unrolled: 1-line block ×3, first 2 shown]
	v_add_f64_e32 v[48:49], v[132:133], v[112:113]
	v_fma_f64 v[126:127], v[126:127], -0.5, v[50:51]
	v_add_f64_e32 v[50:51], v[110:111], v[114:115]
	v_add_f64_e32 v[88:89], v[140:141], v[116:117]
	;; [unrolled: 1-line block ×3, first 2 shown]
	s_wait_alu 0xfffe
	v_fma_f64 v[96:97], v[108:109], s[12:13], v[118:119]
	v_fma_f64 v[100:101], v[108:109], s[2:3], v[118:119]
	;; [unrolled: 1-line block ×4, first 2 shown]
	v_and_b32_e32 v62, 0xffff, v151
	v_fma_f64 v[112:113], v[106:107], s[2:3], v[120:121]
	v_fma_f64 v[116:117], v[106:107], s[12:13], v[120:121]
	;; [unrolled: 1-line block ×4, first 2 shown]
	v_mad_u16 v63, v150, 9, v164
	v_fma_f64 v[108:109], v[146:147], s[2:3], v[128:129]
	v_fma_f64 v[104:105], v[146:147], s[12:13], v[128:129]
	;; [unrolled: 1-line block ×8, first 2 shown]
	v_mad_u16 v102, v163, 9, v165
	v_mul_u32_u24_e32 v62, 9, v62
	v_and_b32_e32 v63, 0xff, v63
	v_and_b32_e32 v163, 0xff, v167
	s_delay_alu instid0(VALU_DEP_4) | instskip(NEXT) | instid1(VALU_DEP_4)
	v_and_b32_e32 v102, 0xff, v102
	v_add_nc_u32_e32 v62, v62, v166
	s_delay_alu instid0(VALU_DEP_4) | instskip(NEXT) | instid1(VALU_DEP_3)
	v_lshl_add_u32 v166, v63, 4, v158
	v_lshl_add_u32 v165, v102, 4, v158
	s_delay_alu instid0(VALU_DEP_3)
	v_lshl_add_u32 v164, v62, 4, v158
	ds_store_b128 v166, v[52:55]
	ds_store_b128 v166, v[112:115] offset:48
	ds_store_b128 v166, v[116:119] offset:96
	ds_store_b128 v165, v[88:91]
	ds_store_b128 v165, v[120:123] offset:48
	ds_store_b128 v165, v[124:127] offset:96
	;; [unrolled: 3-line block ×3, first 2 shown]
	s_and_saveexec_b32 s2, vcc_lo
	s_cbranch_execz .LBB0_11
; %bb.10:
	v_add_f64_e32 v[46:47], v[46:47], v[60:61]
	v_add_f64_e32 v[44:45], v[44:45], v[92:93]
	v_lshl_add_u32 v48, v163, 4, v158
	s_delay_alu instid0(VALU_DEP_3) | instskip(NEXT) | instid1(VALU_DEP_3)
	v_add_f64_e32 v[46:47], v[46:47], v[58:59]
	v_add_f64_e32 v[44:45], v[44:45], v[56:57]
	ds_store_b128 v48, v[44:47] offset:1296
	ds_store_b128 v48, v[108:111] offset:1344
	;; [unrolled: 1-line block ×3, first 2 shown]
.LBB0_11:
	s_wait_alu 0xfffe
	s_or_b32 exec_lo, exec_lo, s2
	v_mad_co_u64_u32 v[48:49], null, 0x90, v155, s[0:1]
	global_wb scope:SCOPE_SE
	s_wait_dscnt 0x0
	s_barrier_signal -1
	s_barrier_wait -1
	global_inv scope:SCOPE_SE
	s_mov_b32 s2, 0x134454ff
	s_mov_b32 s3, 0x3fee6f0e
	s_clause 0x8
	global_load_b128 v[88:91], v[48:49], off offset:128
	global_load_b128 v[96:99], v[48:49], off offset:160
	;; [unrolled: 1-line block ×9, first 2 shown]
	ds_load_b128 v[112:115], v157 offset:432
	ds_load_b128 v[116:119], v157 offset:720
	;; [unrolled: 1-line block ×6, first 2 shown]
	s_mov_b32 s1, 0xbfee6f0e
	s_wait_alu 0xfffe
	s_mov_b32 s0, s2
	s_mov_b32 s14, 0x4755a5e
	;; [unrolled: 1-line block ×4, first 2 shown]
	s_wait_alu 0xfffe
	s_mov_b32 s12, s14
	s_mov_b32 s16, 0x372fe950
	;; [unrolled: 1-line block ×5, first 2 shown]
	s_wait_loadcnt_dscnt 0x805
	v_mul_f64_e32 v[136:137], v[114:115], v[90:91]
	s_wait_loadcnt_dscnt 0x704
	v_mul_f64_e32 v[140:141], v[118:119], v[98:99]
	v_mul_f64_e32 v[142:143], v[116:117], v[98:99]
	s_wait_loadcnt_dscnt 0x603
	v_mul_f64_e32 v[144:145], v[120:121], v[94:95]
	s_wait_loadcnt_dscnt 0x502
	v_mul_f64_e32 v[146:147], v[124:125], v[102:103]
	v_mul_f64_e32 v[148:149], v[126:127], v[102:103]
	;; [unrolled: 1-line block ×4, first 2 shown]
	s_wait_loadcnt_dscnt 0x401
	v_mul_f64_e32 v[167:168], v[130:131], v[46:47]
	v_mul_f64_e32 v[169:170], v[128:129], v[46:47]
	v_fma_f64 v[136:137], v[112:113], v[88:89], -v[136:137]
	v_fma_f64 v[140:141], v[116:117], v[96:97], -v[140:141]
	v_fma_f64 v[142:143], v[118:119], v[96:97], v[142:143]
	v_fma_f64 v[144:145], v[122:123], v[92:93], v[144:145]
	;; [unrolled: 1-line block ×3, first 2 shown]
	v_fma_f64 v[124:125], v[124:125], v[100:101], -v[148:149]
	v_fma_f64 v[146:147], v[120:121], v[92:93], -v[150:151]
	v_fma_f64 v[138:139], v[114:115], v[88:89], v[138:139]
	ds_load_b128 v[112:115], v157 offset:576
	ds_load_b128 v[116:119], v157 offset:864
	;; [unrolled: 1-line block ×3, first 2 shown]
	s_wait_loadcnt_dscnt 0x303
	v_mul_f64_e32 v[148:149], v[134:135], v[62:63]
	v_mul_f64_e32 v[150:151], v[132:133], v[62:63]
	v_fma_f64 v[128:129], v[128:129], v[44:45], -v[167:168]
	v_fma_f64 v[130:131], v[130:131], v[44:45], v[169:170]
	s_wait_loadcnt_dscnt 0x202
	v_mul_f64_e32 v[171:172], v[114:115], v[58:59]
	v_mul_f64_e32 v[173:174], v[112:113], v[58:59]
	s_wait_loadcnt_dscnt 0x101
	v_mul_f64_e32 v[175:176], v[118:119], v[54:55]
	s_wait_loadcnt_dscnt 0x0
	v_mul_f64_e32 v[177:178], v[122:123], v[50:51]
	v_mul_f64_e32 v[179:180], v[116:117], v[54:55]
	;; [unrolled: 1-line block ×3, first 2 shown]
	v_add_f64_e64 v[191:192], v[136:137], -v[140:141]
	v_add_f64_e64 v[195:196], v[140:141], -v[136:137]
	v_add_f64_e32 v[167:168], v[142:143], v[144:145]
	v_add_f64_e64 v[201:202], v[126:127], -v[144:145]
	v_add_f64_e32 v[183:184], v[136:137], v[124:125]
	v_add_f64_e32 v[185:186], v[140:141], v[146:147]
	;; [unrolled: 1-line block ×3, first 2 shown]
	v_add_f64_e64 v[193:194], v[124:125], -v[146:147]
	v_fma_f64 v[132:133], v[132:133], v[60:61], -v[148:149]
	v_fma_f64 v[134:135], v[134:135], v[60:61], v[150:151]
	v_add_f64_e64 v[197:198], v[146:147], -v[124:125]
	v_add_f64_e64 v[199:200], v[138:139], -v[142:143]
	;; [unrolled: 1-line block ×4, first 2 shown]
	v_fma_f64 v[148:149], v[112:113], v[56:57], -v[171:172]
	v_fma_f64 v[150:151], v[114:115], v[56:57], v[173:174]
	v_fma_f64 v[116:117], v[116:117], v[52:53], -v[175:176]
	v_fma_f64 v[120:121], v[120:121], v[48:49], -v[177:178]
	v_fma_f64 v[118:119], v[118:119], v[52:53], v[179:180]
	v_fma_f64 v[122:123], v[122:123], v[48:49], v[181:182]
	v_add_f64_e64 v[171:172], v[138:139], -v[126:127]
	v_add_f64_e64 v[173:174], v[142:143], -v[144:145]
	;; [unrolled: 1-line block ×4, first 2 shown]
	ds_load_b128 v[112:115], v157
	v_fma_f64 v[167:168], v[167:168], -0.5, v[130:131]
	v_fma_f64 v[179:180], v[183:184], -0.5, v[128:129]
	;; [unrolled: 1-line block ×4, first 2 shown]
	v_add_f64_e32 v[128:129], v[128:129], v[136:137]
	v_add_f64_e32 v[130:131], v[130:131], v[138:139]
	s_wait_dscnt 0x0
	v_add_f64_e32 v[215:216], v[112:113], v[132:133]
	v_add_f64_e32 v[221:222], v[114:115], v[134:135]
	;; [unrolled: 1-line block ×6, first 2 shown]
	v_add_f64_e64 v[217:218], v[134:135], -v[122:123]
	v_add_f64_e64 v[219:220], v[150:151], -v[118:119]
	;; [unrolled: 1-line block ×4, first 2 shown]
	v_fma_f64 v[207:208], v[175:176], s[0:1], v[167:168]
	v_fma_f64 v[167:168], v[175:176], s[2:3], v[167:168]
	v_fma_f64 v[211:212], v[173:174], s[2:3], v[179:180]
	v_fma_f64 v[213:214], v[171:172], s[0:1], v[181:182]
	v_fma_f64 v[181:182], v[171:172], s[2:3], v[181:182]
	v_fma_f64 v[209:210], v[177:178], s[2:3], v[169:170]
	v_fma_f64 v[179:180], v[173:174], s[0:1], v[179:180]
	v_fma_f64 v[169:170], v[177:178], s[0:1], v[169:170]
	v_add_f64_e32 v[128:129], v[128:129], v[140:141]
	v_add_f64_e32 v[130:131], v[130:131], v[142:143]
	v_fma_f64 v[136:137], v[183:184], -0.5, v[112:113]
	v_fma_f64 v[112:113], v[185:186], -0.5, v[112:113]
	;; [unrolled: 1-line block ×4, first 2 shown]
	v_add_f64_e32 v[183:184], v[191:192], v[193:194]
	v_add_f64_e32 v[185:186], v[195:196], v[197:198]
	v_add_f64_e32 v[187:188], v[199:200], v[201:202]
	v_add_f64_e32 v[189:190], v[203:204], v[205:206]
	v_add_f64_e64 v[199:200], v[122:123], -v[118:119]
	v_add_f64_e64 v[201:202], v[118:119], -v[122:123]
	s_wait_alu 0xfffe
	v_fma_f64 v[191:192], v[177:178], s[12:13], v[207:208]
	v_fma_f64 v[167:168], v[177:178], s[14:15], v[167:168]
	;; [unrolled: 1-line block ×8, first 2 shown]
	v_add_f64_e64 v[175:176], v[132:133], -v[148:149]
	v_add_f64_e64 v[132:133], v[148:149], -v[132:133]
	;; [unrolled: 1-line block ×4, first 2 shown]
	v_add_f64_e32 v[148:149], v[215:216], v[148:149]
	v_add_f64_e32 v[150:151], v[221:222], v[150:151]
	v_add_f64_e64 v[177:178], v[120:121], -v[116:117]
	v_add_f64_e64 v[179:180], v[116:117], -v[120:121]
	v_add_f64_e32 v[128:129], v[128:129], v[146:147]
	v_add_f64_e32 v[130:131], v[130:131], v[144:145]
	v_fma_f64 v[140:141], v[217:218], s[2:3], v[136:137]
	v_fma_f64 v[142:143], v[219:220], s[0:1], v[112:113]
	;; [unrolled: 1-line block ×16, first 2 shown]
	v_add_f64_e32 v[134:135], v[134:135], v[201:202]
	v_add_f64_e32 v[116:117], v[148:149], v[116:117]
	;; [unrolled: 1-line block ×6, first 2 shown]
	v_fma_f64 v[140:141], v[219:220], s[14:15], v[140:141]
	v_fma_f64 v[142:143], v[217:218], s[14:15], v[142:143]
	;; [unrolled: 1-line block ×8, first 2 shown]
	v_mul_f64_e32 v[148:149], s[14:15], v[191:192]
	v_mul_f64_e32 v[189:190], s[18:19], v[167:168]
	;; [unrolled: 1-line block ×8, first 2 shown]
	v_add_f64_e32 v[199:200], v[116:117], v[120:121]
	v_add_f64_e32 v[201:202], v[118:119], v[122:123]
	;; [unrolled: 1-line block ×4, first 2 shown]
	v_lshlrev_b32_e32 v116, 4, v155
	v_fma_f64 v[203:204], v[175:176], s[16:17], v[140:141]
	v_fma_f64 v[205:206], v[132:133], s[16:17], v[142:143]
	;; [unrolled: 1-line block ×9, first 2 shown]
	v_fma_f64 v[147:148], v[169:170], s[2:3], -v[179:180]
	v_fma_f64 v[179:180], v[197:198], s[12:13], -v[189:190]
	v_fma_f64 v[169:170], v[191:192], s[18:19], v[183:184]
	v_fma_f64 v[145:146], v[171:172], s[16:17], v[150:151]
	;; [unrolled: 1-line block ×3, first 2 shown]
	v_fma_f64 v[173:174], v[195:196], s[0:1], -v[187:188]
	v_fma_f64 v[149:150], v[167:168], s[14:15], -v[181:182]
	s_add_nc_u64 s[0:1], s[10:11], 0x5a0
	v_add_f64_e32 v[117:118], v[199:200], v[121:122]
	v_add_f64_e32 v[119:120], v[201:202], v[123:124]
	v_add_f64_e64 v[121:122], v[199:200], -v[121:122]
	v_add_f64_e64 v[123:124], v[201:202], -v[123:124]
	v_add_f64_e32 v[125:126], v[203:204], v[141:142]
	v_add_f64_e64 v[141:142], v[203:204], -v[141:142]
	v_add_f64_e32 v[133:134], v[112:113], v[147:148]
	v_add_f64_e32 v[139:140], v[177:178], v[179:180]
	;; [unrolled: 1-line block ×7, first 2 shown]
	v_add_f64_e64 v[143:144], v[143:144], -v[169:170]
	v_add_f64_e64 v[145:146], v[205:206], -v[145:146]
	;; [unrolled: 1-line block ×7, first 2 shown]
	ds_store_b128 v157, v[117:120]
	ds_store_b128 v157, v[125:128] offset:144
	ds_store_b128 v157, v[129:132] offset:288
	;; [unrolled: 1-line block ×9, first 2 shown]
	global_wb scope:SCOPE_SE
	s_wait_dscnt 0x0
	s_barrier_signal -1
	s_barrier_wait -1
	global_inv scope:SCOPE_SE
	s_clause 0x8
	global_load_b128 v[117:120], v[153:154], off offset:1440
	global_load_b128 v[121:124], v116, s[0:1] offset:480
	global_load_b128 v[125:128], v116, s[0:1] offset:960
	global_load_b128 v[129:132], v116, s[0:1] offset:144
	global_load_b128 v[133:136], v116, s[0:1] offset:624
	global_load_b128 v[137:140], v116, s[0:1] offset:1104
	global_load_b128 v[141:144], v116, s[0:1] offset:288
	global_load_b128 v[145:148], v116, s[0:1] offset:768
	global_load_b128 v[167:170], v116, s[0:1] offset:1248
	ds_load_b128 v[171:174], v157
	ds_load_b128 v[175:178], v157 offset:480
	ds_load_b128 v[179:182], v157 offset:960
	;; [unrolled: 1-line block ×8, first 2 shown]
	s_wait_loadcnt_dscnt 0x808
	v_mul_f64_e32 v[149:150], v[173:174], v[119:120]
	v_mul_f64_e32 v[119:120], v[171:172], v[119:120]
	s_wait_loadcnt_dscnt 0x707
	v_mul_f64_e32 v[207:208], v[177:178], v[123:124]
	v_mul_f64_e32 v[123:124], v[175:176], v[123:124]
	;; [unrolled: 3-line block ×9, first 2 shown]
	v_fma_f64 v[147:148], v[171:172], v[117:118], -v[149:150]
	v_fma_f64 v[149:150], v[173:174], v[117:118], v[119:120]
	v_fma_f64 v[117:118], v[175:176], v[121:122], -v[207:208]
	v_fma_f64 v[119:120], v[177:178], v[121:122], v[123:124]
	v_fma_f64 v[121:122], v[179:180], v[125:126], -v[209:210]
	v_fma_f64 v[123:124], v[181:182], v[125:126], v[127:128]
	v_fma_f64 v[125:126], v[183:184], v[129:130], -v[211:212]
	v_fma_f64 v[127:128], v[185:186], v[129:130], v[131:132]
	v_fma_f64 v[129:130], v[187:188], v[133:134], -v[213:214]
	v_fma_f64 v[131:132], v[189:190], v[133:134], v[135:136]
	v_fma_f64 v[133:134], v[191:192], v[137:138], -v[215:216]
	v_fma_f64 v[135:136], v[193:194], v[137:138], v[139:140]
	v_fma_f64 v[137:138], v[195:196], v[141:142], -v[217:218]
	v_fma_f64 v[139:140], v[197:198], v[141:142], v[143:144]
	v_fma_f64 v[141:142], v[199:200], v[145:146], -v[219:220]
	v_fma_f64 v[143:144], v[201:202], v[145:146], v[221:222]
	v_fma_f64 v[169:170], v[203:204], v[167:168], -v[223:224]
	v_fma_f64 v[171:172], v[205:206], v[167:168], v[225:226]
	ds_store_b128 v157, v[147:150]
	ds_store_b128 v157, v[125:128] offset:144
	ds_store_b128 v157, v[121:124] offset:960
	;; [unrolled: 1-line block ×8, first 2 shown]
	s_and_saveexec_b32 s2, vcc_lo
	s_cbranch_execz .LBB0_13
; %bb.12:
	s_wait_alu 0xfffe
	v_add_co_u32 v124, s0, s0, v116
	s_wait_alu 0xf1ff
	v_add_co_ci_u32_e64 v125, null, s1, 0, s0
	s_clause 0x2
	global_load_b128 v[116:119], v[124:125], off offset:432
	global_load_b128 v[120:123], v[124:125], off offset:912
	;; [unrolled: 1-line block ×3, first 2 shown]
	ds_load_b128 v[128:131], v157 offset:432
	ds_load_b128 v[132:135], v157 offset:912
	;; [unrolled: 1-line block ×3, first 2 shown]
	s_wait_loadcnt_dscnt 0x202
	v_mul_f64_e32 v[140:141], v[130:131], v[118:119]
	v_mul_f64_e32 v[118:119], v[128:129], v[118:119]
	s_wait_loadcnt_dscnt 0x101
	v_mul_f64_e32 v[142:143], v[134:135], v[122:123]
	v_mul_f64_e32 v[122:123], v[132:133], v[122:123]
	;; [unrolled: 3-line block ×3, first 2 shown]
	v_fma_f64 v[126:127], v[128:129], v[116:117], -v[140:141]
	v_fma_f64 v[128:129], v[130:131], v[116:117], v[118:119]
	v_fma_f64 v[116:117], v[132:133], v[120:121], -v[142:143]
	v_fma_f64 v[118:119], v[134:135], v[120:121], v[122:123]
	;; [unrolled: 2-line block ×3, first 2 shown]
	ds_store_b128 v157, v[126:129] offset:432
	ds_store_b128 v157, v[116:119] offset:912
	;; [unrolled: 1-line block ×3, first 2 shown]
.LBB0_13:
	s_wait_alu 0xfffe
	s_or_b32 exec_lo, exec_lo, s2
	global_wb scope:SCOPE_SE
	s_wait_dscnt 0x0
	s_barrier_signal -1
	s_barrier_wait -1
	global_inv scope:SCOPE_SE
	ds_load_b128 v[132:135], v157
	ds_load_b128 v[128:131], v157 offset:144
	ds_load_b128 v[116:119], v157 offset:960
	ds_load_b128 v[120:123], v157 offset:1104
	ds_load_b128 v[148:151], v157 offset:480
	ds_load_b128 v[136:139], v157 offset:288
	ds_load_b128 v[144:147], v157 offset:624
	ds_load_b128 v[140:143], v157 offset:768
	ds_load_b128 v[124:127], v157 offset:1248
	s_and_saveexec_b32 s0, vcc_lo
	s_cbranch_execz .LBB0_15
; %bb.14:
	ds_load_b128 v[112:115], v157 offset:432
	ds_load_b128 v[108:111], v157 offset:912
	;; [unrolled: 1-line block ×3, first 2 shown]
.LBB0_15:
	s_wait_alu 0xfffe
	s_or_b32 exec_lo, exec_lo, s0
	s_wait_dscnt 0x0
	v_add_f64_e32 v[179:180], v[108:109], v[104:105]
	v_add_f64_e32 v[181:182], v[110:111], v[106:107]
	;; [unrolled: 1-line block ×9, first 2 shown]
	v_add_f64_e64 v[185:186], v[150:151], -v[118:119]
	v_add_f64_e32 v[150:151], v[134:135], v[150:151]
	v_add_f64_e32 v[195:196], v[112:113], v[108:109]
	;; [unrolled: 1-line block ×3, first 2 shown]
	v_add_f64_e64 v[110:111], v[110:111], -v[106:107]
	v_add_f64_e64 v[148:149], v[148:149], -v[116:117]
	v_add_f64_e32 v[187:188], v[128:129], v[144:145]
	v_add_f64_e32 v[189:190], v[130:131], v[146:147]
	v_add_f64_e64 v[146:147], v[146:147], -v[122:123]
	v_add_f64_e64 v[144:145], v[144:145], -v[120:121]
	v_add_f64_e32 v[191:192], v[136:137], v[140:141]
	v_add_f64_e32 v[193:194], v[138:139], v[142:143]
	s_mov_b32 s0, 0xe8584caa
	s_mov_b32 s1, 0xbfebb67a
	;; [unrolled: 1-line block ×3, first 2 shown]
	s_wait_alu 0xfffe
	s_mov_b32 s2, s0
	global_wb scope:SCOPE_SE
	s_barrier_signal -1
	s_barrier_wait -1
	global_inv scope:SCOPE_SE
	v_fma_f64 v[112:113], v[179:180], -0.5, v[112:113]
	v_add_f64_e64 v[179:180], v[108:109], -v[104:105]
	v_fma_f64 v[114:115], v[181:182], -0.5, v[114:115]
	v_fma_f64 v[132:133], v[167:168], -0.5, v[132:133]
	;; [unrolled: 1-line block ×5, first 2 shown]
	v_add_f64_e64 v[171:172], v[142:143], -v[126:127]
	v_fma_f64 v[173:174], v[175:176], -0.5, v[136:137]
	v_add_f64_e64 v[175:176], v[140:141], -v[124:125]
	v_fma_f64 v[177:178], v[177:178], -0.5, v[138:139]
	v_add_f64_e32 v[116:117], v[183:184], v[116:117]
	v_add_f64_e32 v[118:119], v[150:151], v[118:119]
	;; [unrolled: 1-line block ×8, first 2 shown]
	v_fma_f64 v[108:109], v[110:111], s[0:1], v[112:113]
	s_wait_alu 0xfffe
	v_fma_f64 v[112:113], v[110:111], s[2:3], v[112:113]
	v_fma_f64 v[110:111], v[179:180], s[2:3], v[114:115]
	;; [unrolled: 1-line block ×15, first 2 shown]
	ds_store_b128 v161, v[116:119]
	ds_store_b128 v161, v[128:131] offset:16
	ds_store_b128 v161, v[132:135] offset:32
	ds_store_b128 v162, v[120:123]
	ds_store_b128 v162, v[136:139] offset:16
	ds_store_b128 v162, v[140:143] offset:32
	;; [unrolled: 3-line block ×3, first 2 shown]
	s_and_saveexec_b32 s0, vcc_lo
	s_cbranch_execz .LBB0_17
; %bb.16:
	v_lshl_add_u32 v116, v159, 4, v158
	ds_store_b128 v116, v[104:107]
	ds_store_b128 v116, v[108:111] offset:16
	ds_store_b128 v116, v[112:115] offset:32
.LBB0_17:
	s_wait_alu 0xfffe
	s_or_b32 exec_lo, exec_lo, s0
	global_wb scope:SCOPE_SE
	s_wait_dscnt 0x0
	s_barrier_signal -1
	s_barrier_wait -1
	global_inv scope:SCOPE_SE
	ds_load_b128 v[124:127], v157
	ds_load_b128 v[116:119], v157 offset:144
	ds_load_b128 v[140:143], v157 offset:960
	;; [unrolled: 1-line block ×8, first 2 shown]
	s_and_saveexec_b32 s0, vcc_lo
	s_cbranch_execz .LBB0_19
; %bb.18:
	ds_load_b128 v[104:107], v157 offset:432
	ds_load_b128 v[108:111], v157 offset:912
	;; [unrolled: 1-line block ×3, first 2 shown]
.LBB0_19:
	s_wait_alu 0xfffe
	s_or_b32 exec_lo, exec_lo, s0
	s_wait_dscnt 0x4
	v_mul_f64_e32 v[159:160], v[86:87], v[150:151]
	v_mul_f64_e32 v[161:162], v[82:83], v[142:143]
	;; [unrolled: 1-line block ×4, first 2 shown]
	s_wait_dscnt 0x2
	v_mul_f64_e32 v[167:168], v[78:79], v[146:147]
	v_mul_f64_e32 v[169:170], v[74:75], v[130:131]
	;; [unrolled: 1-line block ×4, first 2 shown]
	s_wait_dscnt 0x1
	v_mul_f64_e32 v[171:172], v[70:71], v[134:135]
	s_wait_dscnt 0x0
	v_mul_f64_e32 v[173:174], v[66:67], v[138:139]
	v_mul_f64_e32 v[70:71], v[70:71], v[132:133]
	;; [unrolled: 1-line block ×3, first 2 shown]
	s_mov_b32 s0, 0xe8584caa
	s_mov_b32 s1, 0xbfebb67a
	s_wait_alu 0xfffe
	s_mov_b32 s2, s0
	global_wb scope:SCOPE_SE
	s_barrier_signal -1
	s_barrier_wait -1
	global_inv scope:SCOPE_SE
	v_fma_f64 v[148:149], v[84:85], v[148:149], v[159:160]
	v_fma_f64 v[140:141], v[80:81], v[140:141], v[161:162]
	v_fma_f64 v[84:85], v[84:85], v[150:151], -v[86:87]
	v_fma_f64 v[80:81], v[80:81], v[142:143], -v[82:83]
	v_fma_f64 v[82:83], v[76:77], v[144:145], v[167:168]
	v_fma_f64 v[86:87], v[72:73], v[128:129], v[169:170]
	v_fma_f64 v[76:77], v[76:77], v[146:147], -v[78:79]
	v_fma_f64 v[72:73], v[72:73], v[130:131], -v[74:75]
	;; [unrolled: 4-line block ×3, first 2 shown]
	v_add_f64_e32 v[136:137], v[124:125], v[148:149]
	v_add_f64_e32 v[64:65], v[148:149], v[140:141]
	v_add_f64_e64 v[148:149], v[148:149], -v[140:141]
	v_add_f64_e32 v[66:67], v[84:85], v[80:81]
	v_add_f64_e64 v[138:139], v[84:85], -v[80:81]
	v_add_f64_e32 v[70:71], v[82:83], v[86:87]
	v_add_f64_e32 v[84:85], v[126:127], v[84:85]
	;; [unrolled: 1-line block ×8, first 2 shown]
	v_add_f64_e64 v[159:160], v[76:77], -v[72:73]
	v_add_f64_e64 v[161:162], v[82:83], -v[86:87]
	v_add_f64_e32 v[150:151], v[122:123], v[68:69]
	v_add_f64_e64 v[167:168], v[74:75], -v[78:79]
	v_fma_f64 v[124:125], v[64:65], -0.5, v[124:125]
	v_add_f64_e32 v[64:65], v[136:137], v[140:141]
	v_fma_f64 v[126:127], v[66:67], -0.5, v[126:127]
	v_fma_f64 v[116:117], v[70:71], -0.5, v[116:117]
	v_add_f64_e32 v[66:67], v[84:85], v[80:81]
	v_fma_f64 v[118:119], v[130:131], -0.5, v[118:119]
	v_add_f64_e64 v[130:131], v[68:69], -v[128:129]
	v_fma_f64 v[132:133], v[132:133], -0.5, v[120:121]
	v_add_f64_e32 v[70:71], v[144:145], v[72:73]
	v_fma_f64 v[134:135], v[134:135], -0.5, v[122:123]
	v_add_f64_e32 v[72:73], v[146:147], v[78:79]
	v_add_f64_e32 v[68:69], v[142:143], v[86:87]
	;; [unrolled: 1-line block ×3, first 2 shown]
	v_fma_f64 v[76:77], v[138:139], s[0:1], v[124:125]
	s_wait_alu 0xfffe
	v_fma_f64 v[80:81], v[138:139], s[2:3], v[124:125]
	v_fma_f64 v[78:79], v[148:149], s[2:3], v[126:127]
	v_fma_f64 v[82:83], v[148:149], s[0:1], v[126:127]
	v_fma_f64 v[84:85], v[159:160], s[0:1], v[116:117]
	v_fma_f64 v[116:117], v[159:160], s[2:3], v[116:117]
	v_fma_f64 v[86:87], v[161:162], s[2:3], v[118:119]
	v_fma_f64 v[118:119], v[161:162], s[0:1], v[118:119]
	v_fma_f64 v[120:121], v[130:131], s[0:1], v[132:133]
	v_fma_f64 v[124:125], v[130:131], s[2:3], v[132:133]
	v_fma_f64 v[122:123], v[167:168], s[2:3], v[134:135]
	v_fma_f64 v[126:127], v[167:168], s[0:1], v[134:135]
	ds_store_b128 v166, v[64:67]
	ds_store_b128 v166, v[76:79] offset:48
	ds_store_b128 v166, v[80:83] offset:96
	ds_store_b128 v165, v[68:71]
	ds_store_b128 v165, v[84:87] offset:48
	ds_store_b128 v165, v[116:119] offset:96
	;; [unrolled: 3-line block ×3, first 2 shown]
	s_and_saveexec_b32 s10, vcc_lo
	s_cbranch_execz .LBB0_21
; %bb.20:
	v_mul_f64_e32 v[64:65], v[42:43], v[108:109]
	v_mul_f64_e32 v[66:67], v[38:39], v[112:113]
	;; [unrolled: 1-line block ×4, first 2 shown]
	s_delay_alu instid0(VALU_DEP_4) | instskip(NEXT) | instid1(VALU_DEP_4)
	v_fma_f64 v[64:65], v[40:41], v[110:111], -v[64:65]
	v_fma_f64 v[66:67], v[36:37], v[114:115], -v[66:67]
	s_delay_alu instid0(VALU_DEP_4) | instskip(NEXT) | instid1(VALU_DEP_4)
	v_fma_f64 v[40:41], v[40:41], v[108:109], v[42:43]
	v_fma_f64 v[36:37], v[36:37], v[112:113], v[38:39]
	s_delay_alu instid0(VALU_DEP_4) | instskip(NEXT) | instid1(VALU_DEP_4)
	v_add_f64_e32 v[70:71], v[106:107], v[64:65]
	v_add_f64_e32 v[38:39], v[64:65], v[66:67]
	v_add_f64_e64 v[74:75], v[64:65], -v[66:67]
	s_delay_alu instid0(VALU_DEP_4)
	v_add_f64_e32 v[42:43], v[40:41], v[36:37]
	v_add_f64_e64 v[68:69], v[40:41], -v[36:37]
	v_add_f64_e32 v[40:41], v[104:105], v[40:41]
	v_fma_f64 v[72:73], v[38:39], -0.5, v[106:107]
	v_add_f64_e32 v[38:39], v[70:71], v[66:67]
	v_fma_f64 v[76:77], v[42:43], -0.5, v[104:105]
	s_delay_alu instid0(VALU_DEP_4) | instskip(NEXT) | instid1(VALU_DEP_4)
	v_add_f64_e32 v[36:37], v[40:41], v[36:37]
	v_fma_f64 v[66:67], v[68:69], s[2:3], v[72:73]
	v_fma_f64 v[42:43], v[68:69], s[0:1], v[72:73]
	s_delay_alu instid0(VALU_DEP_4)
	v_fma_f64 v[64:65], v[74:75], s[0:1], v[76:77]
	v_fma_f64 v[40:41], v[74:75], s[2:3], v[76:77]
	v_lshl_add_u32 v68, v163, 4, v158
	ds_store_b128 v68, v[36:39] offset:1296
	ds_store_b128 v68, v[64:67] offset:1344
	;; [unrolled: 1-line block ×3, first 2 shown]
.LBB0_21:
	s_wait_alu 0xfffe
	s_or_b32 exec_lo, exec_lo, s10
	global_wb scope:SCOPE_SE
	s_wait_dscnt 0x0
	s_barrier_signal -1
	s_barrier_wait -1
	global_inv scope:SCOPE_SE
	ds_load_b128 v[36:39], v157 offset:432
	ds_load_b128 v[40:43], v157 offset:720
	;; [unrolled: 1-line block ×6, first 2 shown]
	s_mov_b32 s10, 0x134454ff
	s_mov_b32 s11, 0xbfee6f0e
	;; [unrolled: 1-line block ×3, first 2 shown]
	s_wait_alu 0xfffe
	s_mov_b32 s0, s10
	s_mov_b32 s14, 0x4755a5e
	;; [unrolled: 1-line block ×4, first 2 shown]
	s_wait_alu 0xfffe
	s_mov_b32 s2, s14
	s_mov_b32 s12, 0x372fe950
	;; [unrolled: 1-line block ×6, first 2 shown]
	s_wait_alu 0xfffe
	s_mov_b32 s18, s12
	s_mov_b32 s21, 0xbfe9e377
	s_wait_dscnt 0x5
	v_mul_f64_e32 v[80:81], v[90:91], v[36:37]
	s_wait_dscnt 0x4
	v_mul_f64_e32 v[82:83], v[98:99], v[40:41]
	;; [unrolled: 2-line block ×5, first 2 shown]
	v_mul_f64_e32 v[90:91], v[90:91], v[38:39]
	v_mul_f64_e32 v[98:99], v[98:99], v[42:43]
	;; [unrolled: 1-line block ×5, first 2 shown]
	s_mov_b32 s20, s16
	v_fma_f64 v[110:111], v[88:89], v[38:39], -v[80:81]
	v_fma_f64 v[42:43], v[96:97], v[42:43], -v[82:83]
	;; [unrolled: 1-line block ×4, first 2 shown]
	ds_load_b128 v[80:83], v157 offset:576
	ds_load_b128 v[84:87], v157 offset:864
	;; [unrolled: 1-line block ×3, first 2 shown]
	s_wait_dscnt 0x3
	v_mul_f64_e32 v[38:39], v[62:63], v[78:79]
	v_mul_f64_e32 v[62:63], v[62:63], v[76:77]
	v_fma_f64 v[88:89], v[88:89], v[36:37], v[90:91]
	v_fma_f64 v[40:41], v[96:97], v[40:41], v[98:99]
	;; [unrolled: 1-line block ×4, first 2 shown]
	v_fma_f64 v[74:75], v[44:45], v[74:75], -v[106:107]
	v_fma_f64 v[44:45], v[44:45], v[72:73], v[46:47]
	s_wait_dscnt 0x2
	v_mul_f64_e32 v[112:113], v[58:59], v[82:83]
	v_mul_f64_e32 v[58:59], v[58:59], v[80:81]
	s_wait_dscnt 0x1
	v_mul_f64_e32 v[114:115], v[54:55], v[86:87]
	s_wait_dscnt 0x0
	v_mul_f64_e32 v[116:117], v[50:51], v[104:105]
	v_mul_f64_e32 v[54:55], v[54:55], v[84:85]
	;; [unrolled: 1-line block ×3, first 2 shown]
	v_add_f64_e64 v[96:97], v[110:111], -v[42:43]
	v_add_f64_e32 v[36:37], v[42:43], v[66:67]
	v_add_f64_e32 v[90:91], v[110:111], v[70:71]
	v_add_f64_e64 v[94:95], v[110:111], -v[70:71]
	v_fma_f64 v[76:77], v[60:61], v[76:77], v[38:39]
	v_fma_f64 v[60:61], v[60:61], v[78:79], -v[62:63]
	v_add_f64_e64 v[98:99], v[70:71], -v[66:67]
	v_add_f64_e64 v[100:101], v[42:43], -v[110:111]
	v_add_f64_e32 v[46:47], v[40:41], v[64:65]
	v_add_f64_e64 v[72:73], v[40:41], -v[64:65]
	v_add_f64_e64 v[120:121], v[88:89], -v[40:41]
	;; [unrolled: 1-line block ×4, first 2 shown]
	v_fma_f64 v[62:63], v[56:57], v[80:81], v[112:113]
	v_fma_f64 v[56:57], v[56:57], v[82:83], -v[58:59]
	v_fma_f64 v[58:59], v[52:53], v[84:85], v[114:115]
	v_fma_f64 v[78:79], v[48:49], v[102:103], v[116:117]
	v_fma_f64 v[52:53], v[52:53], v[86:87], -v[54:55]
	v_fma_f64 v[48:49], v[48:49], v[104:105], -v[50:51]
	v_add_f64_e32 v[50:51], v[88:89], v[68:69]
	v_add_f64_e64 v[54:55], v[88:89], -v[68:69]
	v_add_f64_e64 v[102:103], v[66:67], -v[70:71]
	;; [unrolled: 1-line block ×3, first 2 shown]
	v_fma_f64 v[80:81], v[36:37], -0.5, v[74:75]
	v_fma_f64 v[82:83], v[90:91], -0.5, v[74:75]
	ds_load_b128 v[36:39], v157
	v_add_f64_e32 v[74:75], v[74:75], v[110:111]
	v_fma_f64 v[46:47], v[46:47], -0.5, v[44:45]
	v_add_f64_e64 v[126:127], v[60:61], -v[56:57]
	v_add_f64_e32 v[84:85], v[62:63], v[58:59]
	v_add_f64_e32 v[86:87], v[76:77], v[78:79]
	;; [unrolled: 1-line block ×4, first 2 shown]
	v_fma_f64 v[50:51], v[50:51], -0.5, v[44:45]
	s_wait_dscnt 0x0
	v_add_f64_e32 v[112:113], v[36:37], v[76:77]
	v_add_f64_e32 v[118:119], v[38:39], v[60:61]
	;; [unrolled: 1-line block ×3, first 2 shown]
	v_add_f64_e64 v[114:115], v[60:61], -v[48:49]
	v_add_f64_e64 v[116:117], v[56:57], -v[52:53]
	;; [unrolled: 1-line block ×7, first 2 shown]
	v_fma_f64 v[106:107], v[54:55], s[0:1], v[80:81]
	v_fma_f64 v[108:109], v[72:73], s[10:11], v[82:83]
	v_fma_f64 v[82:83], v[72:73], s[0:1], v[82:83]
	v_fma_f64 v[80:81], v[54:55], s[10:11], v[80:81]
	v_add_f64_e32 v[42:43], v[74:75], v[42:43]
	v_fma_f64 v[84:85], v[84:85], -0.5, v[36:37]
	v_fma_f64 v[36:37], v[86:87], -0.5, v[36:37]
	v_add_f64_e64 v[86:87], v[62:63], -v[58:59]
	v_fma_f64 v[90:91], v[90:91], -0.5, v[38:39]
	v_fma_f64 v[38:39], v[92:93], -0.5, v[38:39]
	v_add_f64_e32 v[92:93], v[96:97], v[98:99]
	v_add_f64_e32 v[96:97], v[100:101], v[102:103]
	v_fma_f64 v[98:99], v[94:95], s[10:11], v[46:47]
	v_fma_f64 v[46:47], v[94:95], s[0:1], v[46:47]
	;; [unrolled: 1-line block ×4, first 2 shown]
	v_add_f64_e32 v[56:57], v[118:119], v[56:57]
	v_add_f64_e32 v[40:41], v[44:45], v[40:41]
	;; [unrolled: 1-line block ×5, first 2 shown]
	v_fma_f64 v[102:103], v[72:73], s[2:3], v[106:107]
	v_fma_f64 v[106:107], v[54:55], s[2:3], v[108:109]
	;; [unrolled: 1-line block ×4, first 2 shown]
	v_add_f64_e64 v[80:81], v[76:77], -v[62:63]
	v_add_f64_e64 v[76:77], v[62:63], -v[76:77]
	v_add_f64_e32 v[62:63], v[112:113], v[62:63]
	v_add_f64_e64 v[82:83], v[78:79], -v[58:59]
	v_add_f64_e64 v[108:109], v[58:59], -v[78:79]
	v_add_f64_e32 v[42:43], v[42:43], v[66:67]
	v_fma_f64 v[74:75], v[114:115], s[10:11], v[84:85]
	v_fma_f64 v[84:85], v[114:115], s[0:1], v[84:85]
	;; [unrolled: 1-line block ×12, first 2 shown]
	v_add_f64_e32 v[52:53], v[56:57], v[52:53]
	v_add_f64_e32 v[40:41], v[40:41], v[64:65]
	v_fma_f64 v[94:95], v[92:93], s[12:13], v[102:103]
	v_fma_f64 v[102:103], v[96:97], s[12:13], v[106:107]
	;; [unrolled: 1-line block ×4, first 2 shown]
	v_add_f64_e32 v[58:59], v[62:63], v[58:59]
	v_add_f64_e32 v[80:81], v[80:81], v[82:83]
	v_add_f64_e32 v[76:77], v[76:77], v[108:109]
	v_add_f64_e32 v[82:83], v[126:127], v[128:129]
	v_add_f64_e32 v[42:43], v[42:43], v[70:71]
	v_fma_f64 v[56:57], v[116:117], s[14:15], v[74:75]
	v_fma_f64 v[62:63], v[116:117], s[2:3], v[84:85]
	;; [unrolled: 1-line block ×12, first 2 shown]
	v_add_f64_e32 v[48:49], v[52:53], v[48:49]
	v_add_f64_e32 v[40:41], v[40:41], v[68:69]
	v_mul_f64_e32 v[88:89], s[14:15], v[94:95]
	v_mul_f64_e32 v[94:95], s[16:17], v[94:95]
	;; [unrolled: 1-line block ×5, first 2 shown]
	s_wait_alu 0xfffe
	v_mul_f64_e32 v[54:55], s[18:19], v[54:55]
	v_mul_f64_e32 v[96:97], s[14:15], v[72:73]
	;; [unrolled: 1-line block ×3, first 2 shown]
	v_add_f64_e32 v[58:59], v[58:59], v[78:79]
	v_fma_f64 v[68:69], v[80:81], s[12:13], v[56:57]
	v_fma_f64 v[62:63], v[80:81], s[12:13], v[62:63]
	;; [unrolled: 1-line block ×8, first 2 shown]
	v_add_f64_e32 v[38:39], v[48:49], v[42:43]
	v_add_f64_e64 v[42:43], v[48:49], -v[42:43]
	v_fma_f64 v[60:61], v[86:87], s[16:17], v[88:89]
	v_fma_f64 v[86:87], v[86:87], s[2:3], v[94:95]
	;; [unrolled: 1-line block ×8, first 2 shown]
	v_add_f64_e32 v[36:37], v[58:59], v[40:41]
	v_add_f64_e64 v[40:41], v[58:59], -v[40:41]
	s_mul_u64 s[2:3], s[4:5], 30
	v_mad_co_u64_u32 v[94:95], null, s4, v156, 0
	s_wait_alu 0xfffe
	s_lshl_b64 s[2:3], s[2:3], 4
	v_add_f64_e32 v[44:45], v[68:69], v[60:61]
	v_add_f64_e32 v[46:47], v[66:67], v[86:87]
	;; [unrolled: 1-line block ×8, first 2 shown]
	v_add_f64_e64 v[60:61], v[68:69], -v[60:61]
	v_add_f64_e64 v[72:73], v[62:63], -v[84:85]
	;; [unrolled: 1-line block ×8, first 2 shown]
	v_mad_co_u64_u32 v[76:77], null, s6, v152, 0
	v_mad_co_u64_u32 v[78:79], null, s4, v155, 0
	ds_store_b128 v157, v[36:39]
	ds_store_b128 v157, v[44:47] offset:144
	ds_store_b128 v157, v[48:51] offset:288
	;; [unrolled: 1-line block ×9, first 2 shown]
	global_wb scope:SCOPE_SE
	s_wait_dscnt 0x0
	s_barrier_signal -1
	s_barrier_wait -1
	global_inv scope:SCOPE_SE
	ds_load_b128 v[36:39], v157
	ds_load_b128 v[40:43], v157 offset:480
	v_mov_b32_e32 v52, v77
	v_mov_b32_e32 v60, v79
	ds_load_b128 v[44:47], v157 offset:960
	ds_load_b128 v[48:51], v157 offset:144
	v_mad_co_u64_u32 v[72:73], null, s7, v152, v[52:53]
	v_mad_co_u64_u32 v[73:74], null, s5, v155, v[60:61]
	ds_load_b128 v[52:55], v157 offset:624
	ds_load_b128 v[56:59], v157 offset:1104
	;; [unrolled: 1-line block ×5, first 2 shown]
	s_movk_i32 s6, 0xffcd
	s_mov_b32 s7, -1
	v_mov_b32_e32 v77, v72
	s_wait_alu 0xfffe
	s_mul_u64 s[6:7], s[4:5], s[6:7]
	v_mov_b32_e32 v79, v73
	s_wait_alu 0xfffe
	s_lshl_b64 s[6:7], s[6:7], 4
	s_wait_dscnt 0x8
	v_mul_f64_e32 v[72:73], v[10:11], v[38:39]
	v_mul_f64_e32 v[10:11], v[10:11], v[36:37]
	s_wait_dscnt 0x7
	v_mul_f64_e32 v[74:75], v[6:7], v[42:43]
	v_mul_f64_e32 v[6:7], v[6:7], v[40:41]
	s_wait_dscnt 0x6
	v_mul_f64_e32 v[80:81], v[14:15], v[46:47]
	v_mul_f64_e32 v[14:15], v[14:15], v[44:45]
	s_wait_dscnt 0x5
	v_mul_f64_e32 v[82:83], v[22:23], v[50:51]
	v_mul_f64_e32 v[22:23], v[22:23], v[48:49]
	v_lshlrev_b64_e32 v[76:77], 4, v[76:77]
	v_lshlrev_b64_e32 v[78:79], 4, v[78:79]
	s_wait_dscnt 0x4
	v_mul_f64_e32 v[84:85], v[30:31], v[54:55]
	v_mul_f64_e32 v[30:31], v[30:31], v[52:53]
	s_wait_dscnt 0x3
	v_mul_f64_e32 v[86:87], v[18:19], v[58:59]
	v_mul_f64_e32 v[18:19], v[18:19], v[56:57]
	;; [unrolled: 3-line block ×5, first 2 shown]
	v_add_co_u32 v96, s0, s8, v76
	s_wait_alu 0xf1ff
	v_add_co_ci_u32_e64 v97, s0, s9, v77, s0
	s_mov_b32 s8, 0x16c16c17
	s_delay_alu instid0(VALU_DEP_2) | instskip(SKIP_1) | instid1(VALU_DEP_2)
	v_add_co_u32 v76, s0, v96, v78
	s_wait_alu 0xf1ff
	v_add_co_ci_u32_e64 v77, s0, v97, v79, s0
	s_mov_b32 s9, 0x3f86c16c
	s_delay_alu instid0(VALU_DEP_2) | instskip(SKIP_1) | instid1(VALU_DEP_2)
	v_add_co_u32 v78, s0, v76, s2
	s_wait_alu 0xf1ff
	v_add_co_ci_u32_e64 v79, s0, s3, v77, s0
	v_fma_f64 v[36:37], v[8:9], v[36:37], v[72:73]
	v_fma_f64 v[8:9], v[8:9], v[38:39], -v[10:11]
	v_fma_f64 v[10:11], v[4:5], v[40:41], v[74:75]
	v_fma_f64 v[38:39], v[4:5], v[42:43], -v[6:7]
	;; [unrolled: 2-line block ×4, first 2 shown]
	v_add_co_u32 v50, s0, v78, s2
	v_fma_f64 v[22:23], v[28:29], v[52:53], v[84:85]
	v_fma_f64 v[28:29], v[28:29], v[54:55], -v[30:31]
	v_fma_f64 v[30:31], v[16:17], v[56:57], v[86:87]
	v_fma_f64 v[42:43], v[16:17], v[58:59], -v[18:19]
	;; [unrolled: 2-line block ×5, first 2 shown]
	s_wait_alu 0xf1ff
	v_add_co_ci_u32_e64 v51, s0, s3, v79, s0
	s_wait_alu 0xfffe
	v_add_co_u32 v52, s0, v50, s6
	v_mov_b32_e32 v56, v95
	s_wait_alu 0xf1ff
	v_add_co_ci_u32_e64 v53, s0, s7, v51, s0
	s_delay_alu instid0(VALU_DEP_3) | instskip(SKIP_1) | instid1(VALU_DEP_2)
	v_add_co_u32 v54, s0, v52, s2
	s_wait_alu 0xf1ff
	v_add_co_ci_u32_e64 v55, s0, s3, v53, s0
	s_delay_alu instid0(VALU_DEP_2) | instskip(SKIP_1) | instid1(VALU_DEP_2)
	v_add_co_u32 v57, s0, v54, s2
	s_wait_alu 0xf1ff
	v_add_co_ci_u32_e64 v58, s0, s3, v55, s0
	v_mul_f64_e32 v[2:3], s[8:9], v[36:37]
	v_mul_f64_e32 v[4:5], s[8:9], v[8:9]
	v_mul_f64_e32 v[6:7], s[8:9], v[10:11]
	v_mul_f64_e32 v[8:9], s[8:9], v[38:39]
	v_mul_f64_e32 v[10:11], s[8:9], v[40:41]
	v_mul_f64_e32 v[12:13], s[8:9], v[12:13]
	v_mul_f64_e32 v[14:15], s[8:9], v[14:15]
	v_mul_f64_e32 v[16:17], s[8:9], v[20:21]
	v_add_co_u32 v38, s0, v57, s6
	v_mul_f64_e32 v[18:19], s[8:9], v[22:23]
	v_mul_f64_e32 v[20:21], s[8:9], v[28:29]
	;; [unrolled: 1-line block ×10, first 2 shown]
	s_wait_alu 0xf1ff
	v_add_co_ci_u32_e64 v39, s0, s7, v58, s0
	v_mad_co_u64_u32 v[40:41], null, s5, v156, v[56:57]
	s_delay_alu instid0(VALU_DEP_2) | instskip(NEXT) | instid1(VALU_DEP_2)
	v_mad_co_u64_u32 v[0:1], null, 0x3c0, s4, v[38:39]
	v_mov_b32_e32 v95, v40
	s_delay_alu instid0(VALU_DEP_1) | instskip(NEXT) | instid1(VALU_DEP_3)
	v_lshlrev_b64_e32 v[40:41], 4, v[94:95]
	v_mad_co_u64_u32 v[42:43], null, 0x3c0, s5, v[1:2]
	s_delay_alu instid0(VALU_DEP_2) | instskip(SKIP_1) | instid1(VALU_DEP_3)
	v_add_co_u32 v40, s0, v96, v40
	s_wait_alu 0xf1ff
	v_add_co_ci_u32_e64 v41, s0, v97, v41, s0
	s_delay_alu instid0(VALU_DEP_3)
	v_mov_b32_e32 v1, v42
	s_clause 0x4
	global_store_b128 v[76:77], v[2:5], off
	global_store_b128 v[78:79], v[6:9], off
	;; [unrolled: 1-line block ×9, first 2 shown]
	s_and_b32 exec_lo, exec_lo, vcc_lo
	s_cbranch_execz .LBB0_23
; %bb.22:
	s_clause 0x2
	global_load_b128 v[2:5], v[153:154], off offset:432
	global_load_b128 v[6:9], v[153:154], off offset:912
	;; [unrolled: 1-line block ×3, first 2 shown]
	ds_load_b128 v[14:17], v157 offset:432
	ds_load_b128 v[18:21], v157 offset:912
	;; [unrolled: 1-line block ×3, first 2 shown]
	v_add_co_u32 v0, vcc_lo, v0, s6
	s_wait_alu 0xfffd
	v_add_co_ci_u32_e32 v1, vcc_lo, s7, v1, vcc_lo
	s_wait_loadcnt_dscnt 0x202
	v_mul_f64_e32 v[26:27], v[16:17], v[4:5]
	v_mul_f64_e32 v[4:5], v[14:15], v[4:5]
	s_wait_loadcnt_dscnt 0x101
	v_mul_f64_e32 v[28:29], v[20:21], v[8:9]
	v_mul_f64_e32 v[8:9], v[18:19], v[8:9]
	;; [unrolled: 3-line block ×3, first 2 shown]
	v_fma_f64 v[14:15], v[14:15], v[2:3], v[26:27]
	v_fma_f64 v[4:5], v[2:3], v[16:17], -v[4:5]
	v_fma_f64 v[16:17], v[18:19], v[6:7], v[28:29]
	v_fma_f64 v[8:9], v[6:7], v[20:21], -v[8:9]
	;; [unrolled: 2-line block ×3, first 2 shown]
	v_mul_f64_e32 v[2:3], s[8:9], v[14:15]
	v_mul_f64_e32 v[4:5], s[8:9], v[4:5]
	;; [unrolled: 1-line block ×6, first 2 shown]
	v_add_co_u32 v14, vcc_lo, v0, s2
	s_wait_alu 0xfffd
	v_add_co_ci_u32_e32 v15, vcc_lo, s3, v1, vcc_lo
	s_delay_alu instid0(VALU_DEP_2) | instskip(SKIP_1) | instid1(VALU_DEP_2)
	v_add_co_u32 v16, vcc_lo, v14, s2
	s_wait_alu 0xfffd
	v_add_co_ci_u32_e32 v17, vcc_lo, s3, v15, vcc_lo
	global_store_b128 v[0:1], v[2:5], off
	global_store_b128 v[14:15], v[6:9], off
	;; [unrolled: 1-line block ×3, first 2 shown]
.LBB0_23:
	s_nop 0
	s_sendmsg sendmsg(MSG_DEALLOC_VGPRS)
	s_endpgm
	.section	.rodata,"a",@progbits
	.p2align	6, 0x0
	.amdhsa_kernel bluestein_single_fwd_len90_dim1_dp_op_CI_CI
		.amdhsa_group_segment_fixed_size 10080
		.amdhsa_private_segment_fixed_size 0
		.amdhsa_kernarg_size 104
		.amdhsa_user_sgpr_count 2
		.amdhsa_user_sgpr_dispatch_ptr 0
		.amdhsa_user_sgpr_queue_ptr 0
		.amdhsa_user_sgpr_kernarg_segment_ptr 1
		.amdhsa_user_sgpr_dispatch_id 0
		.amdhsa_user_sgpr_private_segment_size 0
		.amdhsa_wavefront_size32 1
		.amdhsa_uses_dynamic_stack 0
		.amdhsa_enable_private_segment 0
		.amdhsa_system_sgpr_workgroup_id_x 1
		.amdhsa_system_sgpr_workgroup_id_y 0
		.amdhsa_system_sgpr_workgroup_id_z 0
		.amdhsa_system_sgpr_workgroup_info 0
		.amdhsa_system_vgpr_workitem_id 0
		.amdhsa_next_free_vgpr 227
		.amdhsa_next_free_sgpr 22
		.amdhsa_reserve_vcc 1
		.amdhsa_float_round_mode_32 0
		.amdhsa_float_round_mode_16_64 0
		.amdhsa_float_denorm_mode_32 3
		.amdhsa_float_denorm_mode_16_64 3
		.amdhsa_fp16_overflow 0
		.amdhsa_workgroup_processor_mode 1
		.amdhsa_memory_ordered 1
		.amdhsa_forward_progress 0
		.amdhsa_round_robin_scheduling 0
		.amdhsa_exception_fp_ieee_invalid_op 0
		.amdhsa_exception_fp_denorm_src 0
		.amdhsa_exception_fp_ieee_div_zero 0
		.amdhsa_exception_fp_ieee_overflow 0
		.amdhsa_exception_fp_ieee_underflow 0
		.amdhsa_exception_fp_ieee_inexact 0
		.amdhsa_exception_int_div_zero 0
	.end_amdhsa_kernel
	.text
.Lfunc_end0:
	.size	bluestein_single_fwd_len90_dim1_dp_op_CI_CI, .Lfunc_end0-bluestein_single_fwd_len90_dim1_dp_op_CI_CI
                                        ; -- End function
	.section	.AMDGPU.csdata,"",@progbits
; Kernel info:
; codeLenInByte = 10348
; NumSgprs: 24
; NumVgprs: 227
; ScratchSize: 0
; MemoryBound: 0
; FloatMode: 240
; IeeeMode: 1
; LDSByteSize: 10080 bytes/workgroup (compile time only)
; SGPRBlocks: 2
; VGPRBlocks: 28
; NumSGPRsForWavesPerEU: 24
; NumVGPRsForWavesPerEU: 227
; Occupancy: 6
; WaveLimiterHint : 1
; COMPUTE_PGM_RSRC2:SCRATCH_EN: 0
; COMPUTE_PGM_RSRC2:USER_SGPR: 2
; COMPUTE_PGM_RSRC2:TRAP_HANDLER: 0
; COMPUTE_PGM_RSRC2:TGID_X_EN: 1
; COMPUTE_PGM_RSRC2:TGID_Y_EN: 0
; COMPUTE_PGM_RSRC2:TGID_Z_EN: 0
; COMPUTE_PGM_RSRC2:TIDIG_COMP_CNT: 0
	.text
	.p2alignl 7, 3214868480
	.fill 96, 4, 3214868480
	.type	__hip_cuid_827f895b3a4410c0,@object ; @__hip_cuid_827f895b3a4410c0
	.section	.bss,"aw",@nobits
	.globl	__hip_cuid_827f895b3a4410c0
__hip_cuid_827f895b3a4410c0:
	.byte	0                               ; 0x0
	.size	__hip_cuid_827f895b3a4410c0, 1

	.ident	"AMD clang version 19.0.0git (https://github.com/RadeonOpenCompute/llvm-project roc-6.4.0 25133 c7fe45cf4b819c5991fe208aaa96edf142730f1d)"
	.section	".note.GNU-stack","",@progbits
	.addrsig
	.addrsig_sym __hip_cuid_827f895b3a4410c0
	.amdgpu_metadata
---
amdhsa.kernels:
  - .args:
      - .actual_access:  read_only
        .address_space:  global
        .offset:         0
        .size:           8
        .value_kind:     global_buffer
      - .actual_access:  read_only
        .address_space:  global
        .offset:         8
        .size:           8
        .value_kind:     global_buffer
      - .actual_access:  read_only
        .address_space:  global
        .offset:         16
        .size:           8
        .value_kind:     global_buffer
      - .actual_access:  read_only
        .address_space:  global
        .offset:         24
        .size:           8
        .value_kind:     global_buffer
      - .actual_access:  read_only
        .address_space:  global
        .offset:         32
        .size:           8
        .value_kind:     global_buffer
      - .offset:         40
        .size:           8
        .value_kind:     by_value
      - .address_space:  global
        .offset:         48
        .size:           8
        .value_kind:     global_buffer
      - .address_space:  global
        .offset:         56
        .size:           8
        .value_kind:     global_buffer
      - .address_space:  global
        .offset:         64
        .size:           8
        .value_kind:     global_buffer
      - .address_space:  global
        .offset:         72
        .size:           8
        .value_kind:     global_buffer
      - .offset:         80
        .size:           4
        .value_kind:     by_value
      - .address_space:  global
        .offset:         88
        .size:           8
        .value_kind:     global_buffer
      - .address_space:  global
        .offset:         96
        .size:           8
        .value_kind:     global_buffer
    .group_segment_fixed_size: 10080
    .kernarg_segment_align: 8
    .kernarg_segment_size: 104
    .language:       OpenCL C
    .language_version:
      - 2
      - 0
    .max_flat_workgroup_size: 63
    .name:           bluestein_single_fwd_len90_dim1_dp_op_CI_CI
    .private_segment_fixed_size: 0
    .sgpr_count:     24
    .sgpr_spill_count: 0
    .symbol:         bluestein_single_fwd_len90_dim1_dp_op_CI_CI.kd
    .uniform_work_group_size: 1
    .uses_dynamic_stack: false
    .vgpr_count:     227
    .vgpr_spill_count: 0
    .wavefront_size: 32
    .workgroup_processor_mode: 1
amdhsa.target:   amdgcn-amd-amdhsa--gfx1201
amdhsa.version:
  - 1
  - 2
...

	.end_amdgpu_metadata
